;; amdgpu-corpus repo=ROCm/rocFFT kind=compiled arch=gfx950 opt=O3
	.text
	.amdgcn_target "amdgcn-amd-amdhsa--gfx950"
	.amdhsa_code_object_version 6
	.protected	fft_rtc_back_len400_factors_4_10_10_wgs_120_tpt_40_halfLds_dp_ip_CI_unitstride_sbrr_R2C_dirReg ; -- Begin function fft_rtc_back_len400_factors_4_10_10_wgs_120_tpt_40_halfLds_dp_ip_CI_unitstride_sbrr_R2C_dirReg
	.globl	fft_rtc_back_len400_factors_4_10_10_wgs_120_tpt_40_halfLds_dp_ip_CI_unitstride_sbrr_R2C_dirReg
	.p2align	8
	.type	fft_rtc_back_len400_factors_4_10_10_wgs_120_tpt_40_halfLds_dp_ip_CI_unitstride_sbrr_R2C_dirReg,@function
fft_rtc_back_len400_factors_4_10_10_wgs_120_tpt_40_halfLds_dp_ip_CI_unitstride_sbrr_R2C_dirReg: ; @fft_rtc_back_len400_factors_4_10_10_wgs_120_tpt_40_halfLds_dp_ip_CI_unitstride_sbrr_R2C_dirReg
; %bb.0:
	s_load_dwordx2 s[8:9], s[0:1], 0x50
	s_load_dwordx4 s[4:7], s[0:1], 0x0
	s_load_dwordx2 s[10:11], s[0:1], 0x18
	v_mul_u32_u24_e32 v1, 0x667, v0
	v_lshrrev_b32_e32 v2, 16, v1
	v_mad_u64_u32 v[2:3], s[2:3], s2, 3, v[2:3]
	v_mov_b32_e32 v6, 0
	v_mov_b32_e32 v3, v6
	s_waitcnt lgkmcnt(0)
	v_cmp_lt_u64_e64 s[2:3], s[6:7], 2
	s_and_b64 vcc, exec, s[2:3]
	v_mov_b64_e32 v[4:5], 0
	v_mov_b64_e32 v[10:11], v[2:3]
	s_cbranch_vccnz .LBB0_8
; %bb.1:
	s_load_dwordx2 s[2:3], s[0:1], 0x10
	s_add_u32 s12, s10, 8
	s_addc_u32 s13, s11, 0
	s_mov_b64 s[14:15], 1
	v_mov_b64_e32 v[4:5], 0
	s_waitcnt lgkmcnt(0)
	s_add_u32 s16, s2, 8
	s_addc_u32 s17, s3, 0
	v_mov_b64_e32 v[8:9], v[2:3]
.LBB0_2:                                ; =>This Inner Loop Header: Depth=1
	s_load_dwordx2 s[18:19], s[16:17], 0x0
                                        ; implicit-def: $vgpr10_vgpr11
	s_waitcnt lgkmcnt(0)
	v_or_b32_e32 v7, s19, v9
	v_cmp_ne_u64_e32 vcc, 0, v[6:7]
	s_and_saveexec_b64 s[2:3], vcc
	s_xor_b64 s[20:21], exec, s[2:3]
	s_cbranch_execz .LBB0_4
; %bb.3:                                ;   in Loop: Header=BB0_2 Depth=1
	v_cvt_f32_u32_e32 v1, s18
	v_cvt_f32_u32_e32 v3, s19
	s_sub_u32 s2, 0, s18
	s_subb_u32 s3, 0, s19
	v_fmac_f32_e32 v1, 0x4f800000, v3
	v_rcp_f32_e32 v1, v1
	s_nop 0
	v_mul_f32_e32 v1, 0x5f7ffffc, v1
	v_mul_f32_e32 v3, 0x2f800000, v1
	v_trunc_f32_e32 v3, v3
	v_fmac_f32_e32 v1, 0xcf800000, v3
	v_cvt_u32_f32_e32 v3, v3
	v_cvt_u32_f32_e32 v1, v1
	v_mul_lo_u32 v7, s2, v3
	v_mul_hi_u32 v10, s2, v1
	v_mul_lo_u32 v11, s3, v1
	v_add_u32_e32 v7, v10, v7
	v_mul_lo_u32 v14, s2, v1
	v_add_u32_e32 v7, v7, v11
	v_mul_hi_u32 v10, v1, v14
	v_mul_hi_u32 v13, v1, v7
	v_mul_lo_u32 v12, v1, v7
	v_mov_b32_e32 v11, v6
	v_lshl_add_u64 v[10:11], v[10:11], 0, v[12:13]
	v_mul_hi_u32 v13, v3, v14
	v_mul_lo_u32 v14, v3, v14
	v_add_co_u32_e32 v10, vcc, v10, v14
	v_mul_hi_u32 v12, v3, v7
	s_nop 0
	v_addc_co_u32_e32 v10, vcc, v11, v13, vcc
	v_mov_b32_e32 v11, v6
	s_nop 0
	v_addc_co_u32_e32 v13, vcc, 0, v12, vcc
	v_mul_lo_u32 v12, v3, v7
	v_lshl_add_u64 v[10:11], v[10:11], 0, v[12:13]
	v_add_co_u32_e32 v1, vcc, v1, v10
	v_mul_hi_u32 v10, s2, v1
	s_nop 0
	v_addc_co_u32_e32 v3, vcc, v3, v11, vcc
	v_mul_lo_u32 v7, s2, v3
	v_add_u32_e32 v7, v10, v7
	v_mul_lo_u32 v10, s3, v1
	v_add_u32_e32 v7, v7, v10
	v_mul_lo_u32 v12, s2, v1
	v_mul_hi_u32 v15, v3, v12
	v_mul_lo_u32 v16, v3, v12
	v_mul_hi_u32 v11, v1, v7
	;; [unrolled: 2-line block ×3, first 2 shown]
	v_mov_b32_e32 v13, v6
	v_lshl_add_u64 v[10:11], v[12:13], 0, v[10:11]
	v_add_co_u32_e32 v10, vcc, v10, v16
	v_mul_hi_u32 v14, v3, v7
	s_nop 0
	v_addc_co_u32_e32 v10, vcc, v11, v15, vcc
	v_mul_lo_u32 v12, v3, v7
	s_nop 0
	v_addc_co_u32_e32 v13, vcc, 0, v14, vcc
	v_mov_b32_e32 v11, v6
	v_lshl_add_u64 v[10:11], v[10:11], 0, v[12:13]
	v_add_co_u32_e32 v1, vcc, v1, v10
	v_mul_hi_u32 v12, v8, v1
	s_nop 0
	v_addc_co_u32_e32 v3, vcc, v3, v11, vcc
	v_mad_u64_u32 v[10:11], s[2:3], v8, v3, 0
	v_mov_b32_e32 v13, v6
	v_lshl_add_u64 v[10:11], v[12:13], 0, v[10:11]
	v_mad_u64_u32 v[14:15], s[2:3], v9, v1, 0
	v_add_co_u32_e32 v1, vcc, v10, v14
	v_mad_u64_u32 v[12:13], s[2:3], v9, v3, 0
	s_nop 0
	v_addc_co_u32_e32 v10, vcc, v11, v15, vcc
	v_mov_b32_e32 v11, v6
	s_nop 0
	v_addc_co_u32_e32 v13, vcc, 0, v13, vcc
	v_lshl_add_u64 v[10:11], v[10:11], 0, v[12:13]
	v_mul_lo_u32 v1, s19, v10
	v_mul_lo_u32 v3, s18, v11
	v_mad_u64_u32 v[12:13], s[2:3], s18, v10, 0
	v_add3_u32 v1, v13, v3, v1
	v_sub_u32_e32 v3, v9, v1
	v_mov_b32_e32 v7, s19
	v_sub_co_u32_e32 v16, vcc, v8, v12
	v_lshl_add_u64 v[14:15], v[10:11], 0, 1
	s_nop 0
	v_subb_co_u32_e64 v3, s[2:3], v3, v7, vcc
	v_subrev_co_u32_e64 v7, s[2:3], s18, v16
	v_subb_co_u32_e32 v1, vcc, v9, v1, vcc
	s_nop 0
	v_subbrev_co_u32_e64 v3, s[2:3], 0, v3, s[2:3]
	v_cmp_le_u32_e64 s[2:3], s19, v3
	v_cmp_le_u32_e32 vcc, s19, v1
	s_nop 0
	v_cndmask_b32_e64 v12, 0, -1, s[2:3]
	v_cmp_le_u32_e64 s[2:3], s18, v7
	s_nop 1
	v_cndmask_b32_e64 v7, 0, -1, s[2:3]
	v_cmp_eq_u32_e64 s[2:3], s19, v3
	s_nop 1
	v_cndmask_b32_e64 v3, v12, v7, s[2:3]
	v_lshl_add_u64 v[12:13], v[10:11], 0, 2
	v_cmp_ne_u32_e64 s[2:3], 0, v3
	v_cndmask_b32_e64 v7, 0, -1, vcc
	v_cmp_le_u32_e32 vcc, s18, v16
	v_cndmask_b32_e64 v3, v15, v13, s[2:3]
	s_nop 0
	v_cndmask_b32_e64 v13, 0, -1, vcc
	v_cmp_eq_u32_e32 vcc, s19, v1
	s_nop 1
	v_cndmask_b32_e32 v1, v7, v13, vcc
	v_cmp_ne_u32_e32 vcc, 0, v1
	v_cndmask_b32_e64 v1, v14, v12, s[2:3]
	s_nop 0
	v_cndmask_b32_e32 v11, v11, v3, vcc
	v_cndmask_b32_e32 v10, v10, v1, vcc
.LBB0_4:                                ;   in Loop: Header=BB0_2 Depth=1
	s_andn2_saveexec_b64 s[2:3], s[20:21]
	s_cbranch_execz .LBB0_6
; %bb.5:                                ;   in Loop: Header=BB0_2 Depth=1
	v_cvt_f32_u32_e32 v1, s18
	s_sub_i32 s20, 0, s18
	v_mov_b32_e32 v11, v6
	v_rcp_iflag_f32_e32 v1, v1
	s_nop 0
	v_mul_f32_e32 v1, 0x4f7ffffe, v1
	v_cvt_u32_f32_e32 v1, v1
	v_mul_lo_u32 v3, s20, v1
	v_mul_hi_u32 v3, v1, v3
	v_add_u32_e32 v1, v1, v3
	v_mul_hi_u32 v1, v8, v1
	v_mul_lo_u32 v3, v1, s18
	v_sub_u32_e32 v3, v8, v3
	v_add_u32_e32 v7, 1, v1
	v_subrev_u32_e32 v10, s18, v3
	v_cmp_le_u32_e32 vcc, s18, v3
	s_nop 1
	v_cndmask_b32_e32 v3, v3, v10, vcc
	v_cndmask_b32_e32 v1, v1, v7, vcc
	v_add_u32_e32 v7, 1, v1
	v_cmp_le_u32_e32 vcc, s18, v3
	s_nop 1
	v_cndmask_b32_e32 v10, v1, v7, vcc
.LBB0_6:                                ;   in Loop: Header=BB0_2 Depth=1
	s_or_b64 exec, exec, s[2:3]
	v_mad_u64_u32 v[12:13], s[2:3], v10, s18, 0
	s_load_dwordx2 s[2:3], s[12:13], 0x0
	s_add_u32 s14, s14, 1
	v_mul_lo_u32 v1, v11, s18
	v_mul_lo_u32 v3, v10, s19
	s_addc_u32 s15, s15, 0
	v_add3_u32 v1, v13, v3, v1
	v_sub_co_u32_e32 v3, vcc, v8, v12
	s_add_u32 s12, s12, 8
	s_nop 0
	v_subb_co_u32_e32 v1, vcc, v9, v1, vcc
	s_addc_u32 s13, s13, 0
	v_mov_b64_e32 v[8:9], s[6:7]
	s_waitcnt lgkmcnt(0)
	v_mul_lo_u32 v1, s2, v1
	v_mul_lo_u32 v7, s3, v3
	v_mad_u64_u32 v[4:5], s[2:3], s2, v3, v[4:5]
	s_add_u32 s16, s16, 8
	v_cmp_ge_u64_e32 vcc, s[14:15], v[8:9]
	v_add3_u32 v5, v7, v5, v1
	s_addc_u32 s17, s17, 0
	s_cbranch_vccnz .LBB0_8
; %bb.7:                                ;   in Loop: Header=BB0_2 Depth=1
	v_mov_b64_e32 v[8:9], v[10:11]
	s_branch .LBB0_2
.LBB0_8:
	s_lshl_b64 s[2:3], s[6:7], 3
	s_add_u32 s2, s10, s2
	s_addc_u32 s3, s11, s3
	s_load_dwordx2 s[6:7], s[2:3], 0x0
	s_load_dwordx2 s[10:11], s[0:1], 0x20
	s_mov_b32 s2, 0x6666667
                                        ; implicit-def: $vgpr22
	s_waitcnt lgkmcnt(0)
	v_mad_u64_u32 v[4:5], s[0:1], s6, v10, v[4:5]
	v_mul_lo_u32 v1, s6, v11
	v_mul_lo_u32 v3, s7, v10
	s_mov_b32 s0, 0xaaaaaaab
	v_add3_u32 v5, v3, v5, v1
	v_mul_hi_u32 v1, v2, s0
	v_lshrrev_b32_e32 v1, 1, v1
	v_lshl_add_u32 v1, v1, 1, v1
	v_sub_u32_e32 v1, v2, v1
	v_mul_hi_u32 v2, v0, s2
	v_mul_u32_u24_e32 v2, 40, v2
	v_sub_u32_e32 v16, v0, v2
	v_cmp_gt_u64_e64 s[0:1], s[10:11], v[10:11]
	v_cmp_le_u64_e32 vcc, s[10:11], v[10:11]
	v_add_u32_e32 v18, 40, v16
	s_and_saveexec_b64 s[2:3], vcc
	s_xor_b64 s[2:3], exec, s[2:3]
; %bb.9:
	v_add_u32_e32 v18, 40, v16
	v_add_u32_e32 v22, 0x50, v16
; %bb.10:
	s_or_saveexec_b64 s[2:3], s[2:3]
	v_mul_u32_u24_e32 v0, 0x191, v1
	v_lshl_add_u64 v[20:21], v[4:5], 4, s[8:9]
	v_lshlrev_b32_e32 v23, 4, v0
	v_lshlrev_b32_e32 v19, 4, v16
	s_xor_b64 exec, exec, s[2:3]
	s_cbranch_execz .LBB0_12
; %bb.11:
	v_mov_b32_e32 v17, 0
	v_lshl_add_u64 v[48:49], v[16:17], 4, v[20:21]
	v_add_co_u32_e32 v50, vcc, 0x1000, v48
	v_or_b32_e32 v32, 0x140, v16
	v_mov_b32_e32 v33, v17
	global_load_dwordx4 v[0:3], v[48:49], off
	global_load_dwordx4 v[4:7], v[48:49], off offset:640
	global_load_dwordx4 v[8:11], v[48:49], off offset:1280
	;; [unrolled: 1-line block ×5, first 2 shown]
	v_addc_co_u32_e32 v51, vcc, 0, v49, vcc
	v_lshl_add_u64 v[52:53], v[32:33], 4, v[20:21]
	global_load_dwordx4 v[32:35], v[48:49], off offset:3840
	global_load_dwordx4 v[36:39], v[52:53], off
	global_load_dwordx4 v[40:43], v[50:51], off offset:384
	global_load_dwordx4 v[44:47], v[50:51], off offset:1664
	v_add3_u32 v17, 0, v23, v19
	v_add_u32_e32 v22, 0x50, v16
	s_waitcnt vmcnt(9)
	ds_write_b128 v17, v[0:3]
	s_waitcnt vmcnt(8)
	ds_write_b128 v17, v[4:7] offset:640
	s_waitcnt vmcnt(7)
	ds_write_b128 v17, v[8:11] offset:1280
	;; [unrolled: 2-line block ×9, first 2 shown]
.LBB0_12:
	s_or_b64 exec, exec, s[2:3]
	v_add_u32_e32 v53, 0, v23
	v_add_u32_e32 v52, v53, v19
	s_waitcnt lgkmcnt(0)
	s_barrier
	v_add3_u32 v17, 0, v19, v23
	ds_read_b128 v[24:27], v52
	ds_read_b128 v[28:31], v17 offset:640
	ds_read_b128 v[32:35], v17 offset:3200
	;; [unrolled: 1-line block ×11, first 2 shown]
	s_waitcnt lgkmcnt(9)
	v_add_f64 v[58:59], v[24:25], -v[32:33]
	s_waitcnt lgkmcnt(3)
	v_add_f64 v[48:49], v[40:41], -v[48:49]
	v_add_f64 v[50:51], v[42:43], -v[50:51]
	;; [unrolled: 1-line block ×3, first 2 shown]
	v_fma_f64 v[32:33], v[24:25], 2.0, -v[58:59]
	v_fma_f64 v[24:25], v[40:41], 2.0, -v[48:49]
	v_add_f64 v[40:41], v[58:59], v[50:51]
	v_fma_f64 v[34:35], v[26:27], 2.0, -v[60:61]
	v_fma_f64 v[26:27], v[42:43], 2.0, -v[50:51]
	v_add_f64 v[42:43], v[60:61], -v[48:49]
	v_fma_f64 v[48:49], v[58:59], 2.0, -v[40:41]
	v_add_f64 v[58:59], v[28:29], -v[36:37]
	s_waitcnt lgkmcnt(1)
	v_add_f64 v[54:55], v[44:45], -v[54:55]
	v_add_f64 v[56:57], v[46:47], -v[56:57]
	;; [unrolled: 1-line block ×4, first 2 shown]
	v_fma_f64 v[50:51], v[60:61], 2.0, -v[42:43]
	v_add_f64 v[60:61], v[30:31], -v[38:39]
	v_fma_f64 v[36:37], v[28:29], 2.0, -v[58:59]
	v_fma_f64 v[28:29], v[44:45], 2.0, -v[54:55]
	v_add_f64 v[44:45], v[58:59], v[56:57]
	v_fma_f64 v[32:33], v[32:33], 2.0, -v[24:25]
	v_fma_f64 v[34:35], v[34:35], 2.0, -v[26:27]
	;; [unrolled: 1-line block ×4, first 2 shown]
	v_add_f64 v[46:47], v[60:61], -v[54:55]
	v_fma_f64 v[54:55], v[58:59], 2.0, -v[44:45]
	v_mad_u32_u24 v58, v16, 48, v17
	v_add_f64 v[28:29], v[36:37], -v[28:29]
	v_add_f64 v[30:31], v[38:39], -v[30:31]
	s_waitcnt lgkmcnt(0)
	s_barrier
	ds_write_b128 v58, v[32:35]
	ds_write_b128 v58, v[48:51] offset:16
	ds_write_b128 v58, v[24:27] offset:32
	;; [unrolled: 1-line block ×3, first 2 shown]
	v_lshl_add_u32 v24, v18, 6, 0
	v_fma_f64 v[36:37], v[36:37], 2.0, -v[28:29]
	v_fma_f64 v[38:39], v[38:39], 2.0, -v[30:31]
	v_add_u32_e32 v25, v24, v23
	v_cmp_gt_u32_e32 vcc, 20, v16
	v_fma_f64 v[56:57], v[60:61], 2.0, -v[46:47]
	ds_write_b128 v25, v[36:39]
	ds_write_b128 v25, v[54:57] offset:16
	ds_write_b128 v25, v[28:31] offset:32
	;; [unrolled: 1-line block ×3, first 2 shown]
	s_and_saveexec_b64 s[2:3], vcc
	s_cbranch_execz .LBB0_14
; %bb.13:
	v_add_f64 v[30:31], v[2:3], -v[10:11]
	v_add_f64 v[12:13], v[4:5], -v[12:13]
	v_add_f64 v[10:11], v[30:31], -v[12:13]
	v_add_f64 v[32:33], v[0:1], -v[8:9]
	v_add_f64 v[14:15], v[6:7], -v[14:15]
	v_fma_f64 v[28:29], v[30:31], 2.0, -v[10:11]
	v_add_f64 v[8:9], v[32:33], v[14:15]
	v_fma_f64 v[30:31], v[2:3], 2.0, -v[30:31]
	v_fma_f64 v[2:3], v[6:7], 2.0, -v[14:15]
	;; [unrolled: 1-line block ×4, first 2 shown]
	v_add_f64 v[2:3], v[30:31], -v[2:3]
	v_add_f64 v[0:1], v[14:15], -v[0:1]
	v_lshlrev_b32_e32 v12, 6, v22
	v_fma_f64 v[6:7], v[30:31], 2.0, -v[2:3]
	v_fma_f64 v[4:5], v[14:15], 2.0, -v[0:1]
	v_add3_u32 v12, 0, v12, v23
	v_fma_f64 v[26:27], v[32:33], 2.0, -v[8:9]
	ds_write_b128 v12, v[4:7]
	ds_write_b128 v12, v[26:29] offset:16
	ds_write_b128 v12, v[0:3] offset:32
	;; [unrolled: 1-line block ×3, first 2 shown]
.LBB0_14:
	s_or_b64 exec, exec, s[2:3]
	v_and_b32_e32 v56, 3, v16
	v_mul_u32_u24_e32 v0, 9, v56
	v_lshlrev_b32_e32 v0, 4, v0
	s_waitcnt lgkmcnt(0)
	s_barrier
	global_load_dwordx4 v[4:7], v0, s[4:5]
	global_load_dwordx4 v[10:13], v0, s[4:5] offset:16
	global_load_dwordx4 v[26:29], v0, s[4:5] offset:32
	global_load_dwordx4 v[30:33], v0, s[4:5] offset:48
	global_load_dwordx4 v[34:37], v0, s[4:5] offset:64
	global_load_dwordx4 v[38:41], v0, s[4:5] offset:80
	global_load_dwordx4 v[42:45], v0, s[4:5] offset:96
	global_load_dwordx4 v[58:61], v0, s[4:5] offset:112
	global_load_dwordx4 v[62:65], v0, s[4:5] offset:128
	v_mul_i32_i24_e32 v8, 0xffffffd0, v18
	v_lshlrev_b32_e32 v9, 4, v22
	v_add3_u32 v54, v24, v8, v23
	ds_read_b128 v[66:69], v17 offset:2560
	ds_read_b128 v[70:73], v17 offset:3200
	;; [unrolled: 1-line block ×7, first 2 shown]
	ds_read_b128 v[0:3], v52
	ds_read_b128 v[94:97], v54
	v_add3_u32 v55, 0, v9, v23
	ds_read_b128 v[98:101], v55
	s_mov_b32 s10, 0x134454ff
	s_mov_b32 s11, 0xbfee6f0e
	;; [unrolled: 1-line block ×16, first 2 shown]
	s_waitcnt lgkmcnt(0)
	s_barrier
	v_cmp_ne_u32_e32 vcc, 0, v16
	s_waitcnt vmcnt(8)
	v_mul_f64 v[8:9], v[96:97], v[6:7]
	v_mul_f64 v[6:7], v[94:95], v[6:7]
	s_waitcnt vmcnt(7)
	v_mul_f64 v[24:25], v[100:101], v[12:13]
	s_waitcnt vmcnt(5)
	v_mul_f64 v[102:103], v[68:69], v[32:33]
	v_mul_f64 v[12:13], v[98:99], v[12:13]
	s_waitcnt vmcnt(3)
	v_mul_f64 v[106:107], v[76:77], v[40:41]
	v_mul_f64 v[46:47], v[92:93], v[28:29]
	;; [unrolled: 1-line block ×7, first 2 shown]
	s_waitcnt vmcnt(2)
	v_mul_f64 v[50:51], v[80:81], v[44:45]
	v_mul_f64 v[44:45], v[78:79], v[44:45]
	s_waitcnt vmcnt(1)
	v_mul_f64 v[108:109], v[84:85], v[60:61]
	v_mul_f64 v[60:61], v[82:83], v[60:61]
	v_fmac_f64_e32 v[8:9], v[94:95], v[4:5]
	v_fma_f64 v[14:15], v[96:97], v[4:5], -v[6:7]
	s_waitcnt vmcnt(0)
	v_mul_f64 v[4:5], v[86:87], v[64:65]
	v_fmac_f64_e32 v[102:103], v[66:67], v[30:31]
	v_fmac_f64_e32 v[106:107], v[74:75], v[38:39]
	v_mul_f64 v[110:111], v[88:89], v[64:65]
	v_fmac_f64_e32 v[24:25], v[98:99], v[10:11]
	v_fma_f64 v[64:65], v[100:101], v[10:11], -v[12:13]
	v_fma_f64 v[32:33], v[92:93], v[26:27], -v[28:29]
	;; [unrolled: 1-line block ×3, first 2 shown]
	v_fmac_f64_e32 v[48:49], v[70:71], v[34:35]
	v_fma_f64 v[36:37], v[72:73], v[34:35], -v[36:37]
	v_fma_f64 v[30:31], v[76:77], v[38:39], -v[40:41]
	v_fmac_f64_e32 v[50:51], v[78:79], v[42:43]
	v_fma_f64 v[34:35], v[80:81], v[42:43], -v[44:45]
	v_fmac_f64_e32 v[108:109], v[82:83], v[58:59]
	v_fma_f64 v[42:43], v[84:85], v[58:59], -v[60:61]
	v_fma_f64 v[38:39], v[88:89], v[62:63], -v[4:5]
	v_add_f64 v[4:5], v[102:103], v[106:107]
	v_add_f64 v[6:7], v[24:25], -v[102:103]
	v_add_f64 v[10:11], v[108:109], -v[106:107]
	;; [unrolled: 1-line block ×3, first 2 shown]
	v_fma_f64 v[4:5], -0.5, v[4:5], v[0:1]
	v_fmac_f64_e32 v[46:47], v[90:91], v[26:27]
	v_add_f64 v[26:27], v[28:29], -v[30:31]
	v_add_f64 v[6:7], v[6:7], v[10:11]
	v_fma_f64 v[10:11], s[10:11], v[12:13], v[4:5]
	v_fmac_f64_e32 v[4:5], s[8:9], v[12:13]
	v_add_f64 v[44:45], v[24:25], v[108:109]
	v_fmac_f64_e32 v[10:11], s[6:7], v[26:27]
	v_fmac_f64_e32 v[4:5], s[2:3], v[26:27]
	v_add_f64 v[40:41], v[0:1], v[24:25]
	v_fmac_f64_e32 v[10:11], s[12:13], v[6:7]
	v_fmac_f64_e32 v[4:5], s[12:13], v[6:7]
	v_fmac_f64_e32 v[0:1], -0.5, v[44:45]
	v_add_f64 v[6:7], v[102:103], -v[24:25]
	v_add_f64 v[44:45], v[106:107], -v[108:109]
	v_add_f64 v[44:45], v[6:7], v[44:45]
	v_fma_f64 v[6:7], s[8:9], v[26:27], v[0:1]
	v_fmac_f64_e32 v[0:1], s[10:11], v[26:27]
	v_fmac_f64_e32 v[6:7], s[6:7], v[12:13]
	;; [unrolled: 1-line block ×3, first 2 shown]
	v_add_f64 v[12:13], v[40:41], v[102:103]
	v_add_f64 v[12:13], v[12:13], v[106:107]
	v_fmac_f64_e32 v[6:7], s[12:13], v[44:45]
	v_fmac_f64_e32 v[0:1], s[12:13], v[44:45]
	v_add_f64 v[26:27], v[12:13], v[108:109]
	v_add_f64 v[44:45], v[24:25], -v[108:109]
	v_add_f64 v[12:13], v[64:65], -v[28:29]
	v_add_f64 v[24:25], v[42:43], -v[30:31]
	v_add_f64 v[40:41], v[12:13], v[24:25]
	v_add_f64 v[12:13], v[28:29], v[30:31]
	v_fma_f64 v[12:13], -0.5, v[12:13], v[2:3]
	v_add_f64 v[58:59], v[102:103], -v[106:107]
	v_fma_f64 v[24:25], s[8:9], v[44:45], v[12:13]
	v_fmac_f64_e32 v[12:13], s[10:11], v[44:45]
	v_fmac_f64_e32 v[24:25], s[2:3], v[58:59]
	;; [unrolled: 1-line block ×5, first 2 shown]
	v_add_f64 v[40:41], v[2:3], v[64:65]
	v_add_f64 v[60:61], v[64:65], v[42:43]
	;; [unrolled: 1-line block ×3, first 2 shown]
	v_fmac_f64_e32 v[2:3], -0.5, v[60:61]
	v_add_f64 v[28:29], v[28:29], -v[64:65]
	v_add_f64 v[40:41], v[40:41], v[30:31]
	v_add_f64 v[30:31], v[30:31], -v[42:43]
	v_add_f64 v[30:31], v[28:29], v[30:31]
	v_fma_f64 v[28:29], s[10:11], v[58:59], v[2:3]
	v_fmac_f64_e32 v[2:3], s[8:9], v[58:59]
	v_fmac_f64_e32 v[28:29], s[2:3], v[44:45]
	;; [unrolled: 1-line block ×6, first 2 shown]
	v_add_f64 v[30:31], v[48:49], v[50:51]
	v_add_f64 v[40:41], v[40:41], v[42:43]
	v_fma_f64 v[30:31], -0.5, v[30:31], v[8:9]
	v_add_f64 v[42:43], v[46:47], -v[48:49]
	v_add_f64 v[44:45], v[110:111], -v[50:51]
	;; [unrolled: 1-line block ×3, first 2 shown]
	v_add_f64 v[44:45], v[42:43], v[44:45]
	v_fma_f64 v[42:43], s[10:11], v[58:59], v[30:31]
	v_add_f64 v[60:61], v[36:37], -v[34:35]
	v_fmac_f64_e32 v[30:31], s[8:9], v[58:59]
	v_fmac_f64_e32 v[42:43], s[6:7], v[60:61]
	v_fmac_f64_e32 v[30:31], s[2:3], v[60:61]
	v_fmac_f64_e32 v[42:43], s[12:13], v[44:45]
	v_fmac_f64_e32 v[30:31], s[12:13], v[44:45]
	v_add_f64 v[44:45], v[46:47], v[110:111]
	v_add_f64 v[62:63], v[8:9], v[46:47]
	v_fmac_f64_e32 v[8:9], -0.5, v[44:45]
	v_add_f64 v[44:45], v[48:49], -v[46:47]
	v_add_f64 v[64:65], v[50:51], -v[110:111]
	v_add_f64 v[64:65], v[44:45], v[64:65]
	v_fma_f64 v[44:45], s[8:9], v[60:61], v[8:9]
	v_fmac_f64_e32 v[8:9], s[10:11], v[60:61]
	v_fmac_f64_e32 v[44:45], s[6:7], v[58:59]
	;; [unrolled: 1-line block ×3, first 2 shown]
	v_add_f64 v[58:59], v[62:63], v[48:49]
	v_add_f64 v[58:59], v[58:59], v[50:51]
	v_add_f64 v[60:61], v[46:47], -v[110:111]
	v_add_f64 v[48:49], v[48:49], -v[50:51]
	;; [unrolled: 1-line block ×4, first 2 shown]
	v_add_f64 v[50:51], v[46:47], v[50:51]
	v_add_f64 v[46:47], v[36:37], v[34:35]
	v_fma_f64 v[46:47], -0.5, v[46:47], v[14:15]
	v_fma_f64 v[62:63], s[8:9], v[60:61], v[46:47]
	v_fmac_f64_e32 v[46:47], s[10:11], v[60:61]
	v_fmac_f64_e32 v[62:63], s[2:3], v[48:49]
	;; [unrolled: 1-line block ×7, first 2 shown]
	v_add_f64 v[50:51], v[14:15], v[32:33]
	v_add_f64 v[64:65], v[32:33], v[38:39]
	v_fmac_f64_e32 v[14:15], -0.5, v[64:65]
	v_add_f64 v[50:51], v[50:51], v[36:37]
	v_add_f64 v[32:33], v[36:37], -v[32:33]
	v_add_f64 v[36:37], v[50:51], v[34:35]
	v_add_f64 v[34:35], v[34:35], -v[38:39]
	v_fma_f64 v[64:65], s[10:11], v[48:49], v[14:15]
	v_fmac_f64_e32 v[14:15], s[8:9], v[48:49]
	v_add_f64 v[32:33], v[32:33], v[34:35]
	v_fmac_f64_e32 v[14:15], s[6:7], v[60:61]
	v_fmac_f64_e32 v[14:15], s[12:13], v[32:33]
	v_add_f64 v[50:51], v[36:37], v[38:39]
	v_fmac_f64_e32 v[64:65], s[2:3], v[60:61]
	v_mul_f64 v[36:37], v[14:15], s[10:11]
	v_mul_f64 v[14:15], v[14:15], s[14:15]
	v_add_f64 v[58:59], v[58:59], v[110:111]
	v_fmac_f64_e32 v[64:65], s[12:13], v[32:33]
	v_fmac_f64_e32 v[36:37], s[14:15], v[8:9]
	v_fmac_f64_e32 v[14:15], s[8:9], v[8:9]
	v_add_f64 v[32:33], v[0:1], v[36:37]
	v_add_f64 v[34:35], v[2:3], v[14:15]
	v_add_f64 v[0:1], v[0:1], -v[36:37]
	v_add_f64 v[2:3], v[2:3], -v[14:15]
	v_add_f64 v[36:37], v[26:27], v[58:59]
	v_mul_f64 v[8:9], v[62:63], s[6:7]
	v_add_f64 v[48:49], v[26:27], -v[58:59]
	v_mul_f64 v[14:15], v[62:63], s[18:19]
	v_mul_f64 v[58:59], v[64:65], s[10:11]
	v_fmac_f64_e32 v[8:9], s[18:19], v[42:43]
	v_fmac_f64_e32 v[14:15], s[2:3], v[42:43]
	;; [unrolled: 1-line block ×3, first 2 shown]
	v_add_f64 v[38:39], v[40:41], v[50:51]
	v_add_f64 v[50:51], v[40:41], -v[50:51]
	v_add_f64 v[40:41], v[10:11], v[8:9]
	v_add_f64 v[42:43], v[24:25], v[14:15]
	v_add_f64 v[8:9], v[10:11], -v[8:9]
	v_add_f64 v[10:11], v[24:25], -v[14:15]
	v_add_f64 v[24:25], v[6:7], v[58:59]
	v_mul_f64 v[14:15], v[64:65], s[12:13]
	v_add_f64 v[58:59], v[6:7], -v[58:59]
	v_mul_f64 v[6:7], v[46:47], s[16:17]
	v_fmac_f64_e32 v[14:15], s[8:9], v[44:45]
	v_mul_f64 v[44:45], v[46:47], s[6:7]
	v_fmac_f64_e32 v[6:7], s[2:3], v[30:31]
	v_fmac_f64_e32 v[44:45], s[16:17], v[30:31]
	v_add_f64 v[30:31], v[12:13], v[6:7]
	v_add_f64 v[6:7], v[12:13], -v[6:7]
	v_lshrrev_b32_e32 v12, 2, v16
	v_mul_u32_u24_e32 v12, 40, v12
	v_or_b32_e32 v12, v12, v56
	v_lshlrev_b32_e32 v12, 4, v12
	v_add3_u32 v12, 0, v12, v23
	v_add_f64 v[26:27], v[28:29], v[14:15]
	v_add_f64 v[60:61], v[28:29], -v[14:15]
	v_add_f64 v[28:29], v[4:5], v[44:45]
	v_add_f64 v[4:5], v[4:5], -v[44:45]
	ds_write_b128 v12, v[36:39]
	ds_write_b128 v12, v[40:43] offset:64
	ds_write_b128 v12, v[24:27] offset:128
	ds_write_b128 v12, v[32:35] offset:192
	ds_write_b128 v12, v[28:31] offset:256
	ds_write_b128 v12, v[48:51] offset:320
	ds_write_b128 v12, v[8:11] offset:384
	ds_write_b128 v12, v[58:61] offset:448
	ds_write_b128 v12, v[0:3] offset:512
	ds_write_b128 v12, v[4:7] offset:576
	v_mul_u32_u24_e32 v0, 9, v16
	v_lshlrev_b32_e32 v8, 4, v0
	s_waitcnt lgkmcnt(0)
	s_barrier
	global_load_dwordx4 v[0:3], v8, s[4:5] offset:576
	global_load_dwordx4 v[4:7], v8, s[4:5] offset:592
	;; [unrolled: 1-line block ×9, first 2 shown]
	ds_read_b128 v[48:51], v54
	ds_read_b128 v[54:57], v55
	s_waitcnt vmcnt(8) lgkmcnt(1)
	v_mul_f64 v[8:9], v[50:51], v[2:3]
	v_mul_f64 v[2:3], v[48:49], v[2:3]
	v_fmac_f64_e32 v[8:9], v[48:49], v[0:1]
	v_fma_f64 v[10:11], v[50:51], v[0:1], -v[2:3]
	ds_read_b128 v[48:51], v17 offset:1920
	s_waitcnt vmcnt(7) lgkmcnt(1)
	v_mul_f64 v[58:59], v[56:57], v[6:7]
	v_mul_f64 v[0:1], v[54:55], v[6:7]
	v_fmac_f64_e32 v[58:59], v[54:55], v[4:5]
	v_fma_f64 v[60:61], v[56:57], v[4:5], -v[0:1]
	ds_read_b128 v[54:57], v17 offset:2560
	;; [unrolled: 6-line block ×5, first 2 shown]
	s_waitcnt vmcnt(3) lgkmcnt(1)
	v_mul_f64 v[28:29], v[26:27], v[34:35]
	v_fmac_f64_e32 v[28:29], v[24:25], v[32:33]
	v_mul_f64 v[24:25], v[24:25], v[34:35]
	v_fma_f64 v[32:33], v[26:27], v[32:33], -v[24:25]
	ds_read_b128 v[24:27], v17 offset:5120
	s_waitcnt vmcnt(2) lgkmcnt(1)
	v_mul_f64 v[56:57], v[14:15], v[38:39]
	v_fmac_f64_e32 v[56:57], v[12:13], v[36:37]
	v_mul_f64 v[12:13], v[12:13], v[38:39]
	ds_read_b128 v[0:3], v52
	v_fma_f64 v[30:31], v[14:15], v[36:37], -v[12:13]
	ds_read_b128 v[12:15], v17 offset:5760
	s_waitcnt vmcnt(1) lgkmcnt(2)
	v_mul_f64 v[34:35], v[26:27], v[42:43]
	v_fmac_f64_e32 v[34:35], v[24:25], v[40:41]
	v_mul_f64 v[24:25], v[24:25], v[42:43]
	v_fma_f64 v[38:39], v[26:27], v[40:41], -v[24:25]
	s_waitcnt vmcnt(0) lgkmcnt(0)
	v_mul_f64 v[40:41], v[14:15], v[46:47]
	v_fmac_f64_e32 v[40:41], v[12:13], v[44:45]
	v_mul_f64 v[12:13], v[12:13], v[46:47]
	v_fma_f64 v[36:37], v[14:15], v[44:45], -v[12:13]
	v_add_f64 v[12:13], v[48:49], v[28:29]
	v_fma_f64 v[14:15], -0.5, v[12:13], v[0:1]
	v_add_f64 v[12:13], v[60:61], -v[38:39]
	v_add_f64 v[26:27], v[58:59], -v[48:49]
	;; [unrolled: 1-line block ×3, first 2 shown]
	v_fma_f64 v[24:25], s[10:11], v[12:13], v[14:15]
	v_add_f64 v[26:27], v[26:27], v[42:43]
	v_add_f64 v[42:43], v[50:51], -v[32:33]
	v_fmac_f64_e32 v[14:15], s[8:9], v[12:13]
	v_fmac_f64_e32 v[24:25], s[6:7], v[42:43]
	;; [unrolled: 1-line block ×5, first 2 shown]
	v_add_f64 v[26:27], v[58:59], v[34:35]
	v_add_f64 v[44:45], v[0:1], v[58:59]
	v_fmac_f64_e32 v[0:1], -0.5, v[26:27]
	v_add_f64 v[26:27], v[48:49], -v[58:59]
	v_add_f64 v[46:47], v[28:29], -v[34:35]
	v_add_f64 v[46:47], v[26:27], v[46:47]
	v_fma_f64 v[26:27], s[8:9], v[42:43], v[0:1]
	v_fmac_f64_e32 v[0:1], s[10:11], v[42:43]
	v_fmac_f64_e32 v[26:27], s[6:7], v[12:13]
	;; [unrolled: 1-line block ×3, first 2 shown]
	v_add_f64 v[12:13], v[44:45], v[48:49]
	v_add_f64 v[12:13], v[12:13], v[28:29]
	v_add_f64 v[42:43], v[12:13], v[34:35]
	v_add_f64 v[12:13], v[50:51], v[32:33]
	v_fmac_f64_e32 v[26:27], s[12:13], v[46:47]
	v_fmac_f64_e32 v[0:1], s[12:13], v[46:47]
	v_fma_f64 v[12:13], -0.5, v[12:13], v[2:3]
	v_add_f64 v[44:45], v[58:59], -v[34:35]
	v_add_f64 v[46:47], v[48:49], -v[28:29]
	v_add_f64 v[28:29], v[60:61], -v[50:51]
	v_add_f64 v[34:35], v[38:39], -v[32:33]
	v_add_f64 v[34:35], v[28:29], v[34:35]
	v_fma_f64 v[28:29], s[8:9], v[44:45], v[12:13]
	v_fmac_f64_e32 v[12:13], s[10:11], v[44:45]
	v_fmac_f64_e32 v[28:29], s[2:3], v[46:47]
	;; [unrolled: 1-line block ×5, first 2 shown]
	v_add_f64 v[34:35], v[2:3], v[60:61]
	v_add_f64 v[48:49], v[60:61], v[38:39]
	;; [unrolled: 1-line block ×3, first 2 shown]
	v_fmac_f64_e32 v[2:3], -0.5, v[48:49]
	v_add_f64 v[34:35], v[34:35], v[32:33]
	v_add_f64 v[48:49], v[34:35], v[38:39]
	v_add_f64 v[50:51], v[50:51], -v[60:61]
	v_fma_f64 v[34:35], s[10:11], v[46:47], v[2:3]
	v_add_f64 v[32:33], v[32:33], -v[38:39]
	v_fmac_f64_e32 v[2:3], s[8:9], v[46:47]
	v_fmac_f64_e32 v[34:35], s[2:3], v[44:45]
	v_add_f64 v[32:33], v[50:51], v[32:33]
	v_fmac_f64_e32 v[2:3], s[6:7], v[44:45]
	v_fmac_f64_e32 v[34:35], s[12:13], v[32:33]
	;; [unrolled: 1-line block ×3, first 2 shown]
	v_add_f64 v[32:33], v[54:55], v[56:57]
	v_fma_f64 v[32:33], -0.5, v[32:33], v[8:9]
	v_add_f64 v[38:39], v[4:5], -v[36:37]
	v_add_f64 v[46:47], v[62:63], -v[54:55]
	;; [unrolled: 1-line block ×3, first 2 shown]
	v_fma_f64 v[44:45], s[10:11], v[38:39], v[32:33]
	v_add_f64 v[46:47], v[46:47], v[50:51]
	v_add_f64 v[50:51], v[6:7], -v[30:31]
	v_fmac_f64_e32 v[32:33], s[8:9], v[38:39]
	v_fmac_f64_e32 v[44:45], s[6:7], v[50:51]
	;; [unrolled: 1-line block ×3, first 2 shown]
	v_add_f64 v[58:59], v[62:63], v[40:41]
	v_fmac_f64_e32 v[44:45], s[12:13], v[46:47]
	v_fmac_f64_e32 v[32:33], s[12:13], v[46:47]
	v_add_f64 v[46:47], v[8:9], v[62:63]
	v_fmac_f64_e32 v[8:9], -0.5, v[58:59]
	v_add_f64 v[58:59], v[54:55], -v[62:63]
	v_add_f64 v[60:61], v[56:57], -v[40:41]
	v_add_f64 v[58:59], v[58:59], v[60:61]
	v_fma_f64 v[60:61], s[8:9], v[50:51], v[8:9]
	v_fmac_f64_e32 v[8:9], s[10:11], v[50:51]
	v_fmac_f64_e32 v[60:61], s[6:7], v[38:39]
	;; [unrolled: 1-line block ×3, first 2 shown]
	v_add_f64 v[38:39], v[46:47], v[54:55]
	v_add_f64 v[38:39], v[38:39], v[56:57]
	;; [unrolled: 1-line block ×4, first 2 shown]
	v_fmac_f64_e32 v[60:61], s[12:13], v[58:59]
	v_fmac_f64_e32 v[8:9], s[12:13], v[58:59]
	v_fma_f64 v[58:59], -0.5, v[38:39], v[10:11]
	v_add_f64 v[38:39], v[62:63], -v[40:41]
	v_add_f64 v[40:41], v[54:55], -v[56:57]
	;; [unrolled: 1-line block ×4, first 2 shown]
	v_add_f64 v[50:51], v[50:51], v[54:55]
	v_fma_f64 v[54:55], s[8:9], v[38:39], v[58:59]
	v_fmac_f64_e32 v[58:59], s[10:11], v[38:39]
	v_fmac_f64_e32 v[54:55], s[2:3], v[40:41]
	;; [unrolled: 1-line block ×3, first 2 shown]
	v_add_f64 v[56:57], v[4:5], v[36:37]
	v_fmac_f64_e32 v[54:55], s[12:13], v[50:51]
	v_fmac_f64_e32 v[58:59], s[12:13], v[50:51]
	v_add_f64 v[50:51], v[10:11], v[4:5]
	v_fmac_f64_e32 v[10:11], -0.5, v[56:57]
	v_add_f64 v[50:51], v[50:51], v[6:7]
	v_add_f64 v[4:5], v[6:7], -v[4:5]
	v_fma_f64 v[56:57], s[10:11], v[40:41], v[10:11]
	v_add_f64 v[6:7], v[30:31], -v[36:37]
	v_fmac_f64_e32 v[56:57], s[2:3], v[38:39]
	v_add_f64 v[4:5], v[4:5], v[6:7]
	v_fmac_f64_e32 v[56:57], s[12:13], v[4:5]
	v_fmac_f64_e32 v[10:11], s[8:9], v[40:41]
	v_add_f64 v[50:51], v[50:51], v[30:31]
	v_fmac_f64_e32 v[10:11], s[6:7], v[38:39]
	v_mul_f64 v[30:31], v[54:55], s[6:7]
	v_mul_f64 v[54:55], v[54:55], s[18:19]
	;; [unrolled: 1-line block ×4, first 2 shown]
	v_add_f64 v[50:51], v[50:51], v[36:37]
	v_fmac_f64_e32 v[10:11], s[12:13], v[4:5]
	v_fmac_f64_e32 v[54:55], s[2:3], v[44:45]
	;; [unrolled: 1-line block ×3, first 2 shown]
	v_add_f64 v[36:37], v[42:43], v[46:47]
	v_fmac_f64_e32 v[62:63], s[12:13], v[60:61]
	v_add_f64 v[38:39], v[48:49], v[50:51]
	v_add_f64 v[4:5], v[42:43], -v[46:47]
	v_add_f64 v[6:7], v[48:49], -v[50:51]
	v_mul_f64 v[60:61], v[10:11], s[10:11]
	v_add_f64 v[42:43], v[28:29], v[54:55]
	v_add_f64 v[50:51], v[28:29], -v[54:55]
	v_mul_f64 v[54:55], v[10:11], s[14:15]
	v_mul_f64 v[64:65], v[58:59], s[6:7]
	v_add_f64 v[46:47], v[34:35], v[56:57]
	v_add_f64 v[10:11], v[34:35], -v[56:57]
	v_mul_f64 v[34:35], v[58:59], s[16:17]
	v_fmac_f64_e32 v[30:31], s[18:19], v[44:45]
	v_fmac_f64_e32 v[60:61], s[14:15], v[8:9]
	;; [unrolled: 1-line block ×5, first 2 shown]
	v_add_f64 v[40:41], v[24:25], v[30:31]
	v_add_f64 v[44:45], v[26:27], v[62:63]
	v_add_f64 v[48:49], v[24:25], -v[30:31]
	v_add_f64 v[24:25], v[0:1], v[60:61]
	v_add_f64 v[8:9], v[26:27], -v[62:63]
	v_add_f64 v[28:29], v[14:15], v[64:65]
	v_add_f64 v[26:27], v[2:3], v[54:55]
	;; [unrolled: 1-line block ×3, first 2 shown]
	v_add_f64 v[0:1], v[0:1], -v[60:61]
	v_add_f64 v[32:33], v[14:15], -v[64:65]
	v_add_f64 v[2:3], v[2:3], -v[54:55]
	v_add_f64 v[34:35], v[12:13], -v[34:35]
	s_barrier
	ds_write_b128 v17, v[36:39]
	ds_write_b128 v17, v[40:43] offset:640
	ds_write_b128 v17, v[44:47] offset:1280
	;; [unrolled: 1-line block ×9, first 2 shown]
	s_waitcnt lgkmcnt(0)
	s_barrier
	ds_read_b128 v[4:7], v52
	s_add_u32 s2, s4, 0x18c0
	s_addc_u32 s3, s5, 0
	v_sub_u32_e32 v14, v53, v19
                                        ; implicit-def: $vgpr0_vgpr1
                                        ; implicit-def: $vgpr10_vgpr11
                                        ; implicit-def: $vgpr12_vgpr13
                                        ; implicit-def: $vgpr8_vgpr9
	s_and_saveexec_b64 s[4:5], vcc
	s_xor_b64 s[4:5], exec, s[4:5]
	s_cbranch_execz .LBB0_16
; %bb.15:
	v_mov_b32_e32 v17, 0
	v_lshl_add_u64 v[0:1], v[16:17], 4, s[2:3]
	global_load_dwordx4 v[0:3], v[0:1], off
	ds_read_b128 v[8:11], v14 offset:6400
	s_waitcnt lgkmcnt(0)
	v_add_f64 v[24:25], v[4:5], v[8:9]
	v_add_f64 v[4:5], v[4:5], -v[8:9]
	v_add_f64 v[12:13], v[6:7], v[10:11]
	v_add_f64 v[6:7], v[6:7], -v[10:11]
	v_mul_f64 v[4:5], v[4:5], 0.5
	v_mul_f64 v[8:9], v[12:13], 0.5
	;; [unrolled: 1-line block ×3, first 2 shown]
	s_waitcnt vmcnt(0)
	v_mul_f64 v[26:27], v[4:5], v[2:3]
	v_fma_f64 v[12:13], v[8:9], v[2:3], v[6:7]
	v_fma_f64 v[2:3], v[8:9], v[2:3], -v[6:7]
	v_fma_f64 v[10:11], 0.5, v[24:25], v[26:27]
	v_fma_f64 v[6:7], v[24:25], 0.5, -v[26:27]
	v_fma_f64 v[12:13], -v[0:1], v[4:5], v[12:13]
	v_fma_f64 v[2:3], -v[0:1], v[4:5], v[2:3]
	v_fmac_f64_e32 v[10:11], v[8:9], v[0:1]
	v_fma_f64 v[0:1], -v[8:9], v[0:1], v[6:7]
	v_mov_b64_e32 v[8:9], v[16:17]
                                        ; implicit-def: $vgpr4_vgpr5
.LBB0_16:
	s_andn2_saveexec_b64 s[4:5], s[4:5]
	s_cbranch_execz .LBB0_18
; %bb.17:
	ds_read_b64 v[2:3], v53 offset:3208
	v_mov_b64_e32 v[12:13], 0
	s_waitcnt lgkmcnt(1)
	v_add_f64 v[10:11], v[4:5], v[6:7]
	v_add_f64 v[0:1], v[4:5], -v[6:7]
	v_mov_b64_e32 v[8:9], 0
	s_waitcnt lgkmcnt(0)
	v_xor_b32_e32 v3, 0x80000000, v3
	ds_write_b64 v53, v[2:3] offset:3208
	v_mov_b64_e32 v[2:3], v[12:13]
.LBB0_18:
	s_or_b64 exec, exec, s[4:5]
	v_mov_b32_e32 v19, 0
	s_waitcnt lgkmcnt(0)
	v_lshl_add_u64 v[4:5], v[18:19], 4, s[2:3]
	global_load_dwordx4 v[4:7], v[4:5], off
	v_mov_b32_e32 v23, v19
	v_lshl_add_u64 v[24:25], v[22:23], 4, s[2:3]
	global_load_dwordx4 v[24:27], v[24:25], off
	v_lshl_add_u64 v[32:33], v[8:9], 4, s[2:3]
	global_load_dwordx4 v[28:31], v[32:33], off offset:1920
	ds_write2_b64 v52, v[10:11], v[12:13] offset1:1
	ds_write_b128 v14, v[0:3] offset:6400
	v_lshl_add_u32 v15, v18, 4, v53
	ds_read_b128 v[0:3], v15
	ds_read_b128 v[10:13], v14 offset:5760
	global_load_dwordx4 v[32:35], v[32:33], off offset:2560
	v_lshl_add_u32 v17, v22, 4, v53
	s_waitcnt lgkmcnt(0)
	v_add_f64 v[22:23], v[0:1], v[10:11]
	v_add_f64 v[0:1], v[0:1], -v[10:11]
	v_add_f64 v[36:37], v[2:3], v[12:13]
	v_add_f64 v[2:3], v[2:3], -v[12:13]
	v_mul_f64 v[0:1], v[0:1], 0.5
	v_mul_f64 v[10:11], v[36:37], 0.5
	;; [unrolled: 1-line block ×3, first 2 shown]
	s_waitcnt vmcnt(3)
	v_mul_f64 v[12:13], v[0:1], v[6:7]
	v_fma_f64 v[36:37], v[10:11], v[6:7], v[2:3]
	v_fma_f64 v[2:3], v[10:11], v[6:7], -v[2:3]
	v_fma_f64 v[6:7], 0.5, v[22:23], v[12:13]
	v_fma_f64 v[36:37], -v[4:5], v[0:1], v[36:37]
	v_fma_f64 v[12:13], v[22:23], 0.5, -v[12:13]
	v_fmac_f64_e32 v[6:7], v[10:11], v[4:5]
	v_fma_f64 v[2:3], -v[4:5], v[0:1], v[2:3]
	v_fma_f64 v[0:1], -v[10:11], v[4:5], v[12:13]
	ds_write2_b64 v15, v[6:7], v[36:37] offset1:1
	ds_write_b128 v14, v[0:3] offset:5760
	ds_read_b128 v[0:3], v17
	ds_read_b128 v[4:7], v14 offset:5120
	v_add_u32_e32 v15, 0x800, v52
	s_waitcnt lgkmcnt(0)
	v_add_f64 v[10:11], v[0:1], v[4:5]
	v_add_f64 v[0:1], v[0:1], -v[4:5]
	v_add_f64 v[12:13], v[2:3], v[6:7]
	v_add_f64 v[2:3], v[2:3], -v[6:7]
	v_mul_f64 v[0:1], v[0:1], 0.5
	v_mul_f64 v[4:5], v[12:13], 0.5
	;; [unrolled: 1-line block ×3, first 2 shown]
	s_waitcnt vmcnt(2)
	v_mul_f64 v[6:7], v[0:1], v[26:27]
	v_fma_f64 v[12:13], v[4:5], v[26:27], v[2:3]
	v_fma_f64 v[22:23], 0.5, v[10:11], v[6:7]
	v_fma_f64 v[2:3], v[4:5], v[26:27], -v[2:3]
	v_fma_f64 v[12:13], -v[24:25], v[0:1], v[12:13]
	v_fma_f64 v[6:7], v[10:11], 0.5, -v[6:7]
	v_fmac_f64_e32 v[22:23], v[4:5], v[24:25]
	v_fma_f64 v[2:3], -v[24:25], v[0:1], v[2:3]
	v_fma_f64 v[0:1], -v[4:5], v[24:25], v[6:7]
	ds_write2_b64 v17, v[22:23], v[12:13] offset1:1
	ds_write_b128 v14, v[0:3] offset:5120
	ds_read_b128 v[0:3], v52 offset:1920
	ds_read_b128 v[4:7], v14 offset:4480
	s_waitcnt lgkmcnt(0)
	v_add_f64 v[10:11], v[0:1], v[4:5]
	v_add_f64 v[0:1], v[0:1], -v[4:5]
	v_add_f64 v[12:13], v[2:3], v[6:7]
	v_add_f64 v[2:3], v[2:3], -v[6:7]
	v_mul_f64 v[0:1], v[0:1], 0.5
	v_mul_f64 v[4:5], v[12:13], 0.5
	v_mul_f64 v[2:3], v[2:3], 0.5
	s_waitcnt vmcnt(1)
	v_mul_f64 v[6:7], v[0:1], v[30:31]
	v_fma_f64 v[12:13], v[4:5], v[30:31], v[2:3]
	v_fma_f64 v[22:23], 0.5, v[10:11], v[6:7]
	v_fma_f64 v[2:3], v[4:5], v[30:31], -v[2:3]
	v_fma_f64 v[12:13], -v[28:29], v[0:1], v[12:13]
	v_fma_f64 v[6:7], v[10:11], 0.5, -v[6:7]
	v_fmac_f64_e32 v[22:23], v[4:5], v[28:29]
	v_fma_f64 v[2:3], -v[28:29], v[0:1], v[2:3]
	v_fma_f64 v[0:1], -v[4:5], v[28:29], v[6:7]
	ds_write2_b64 v52, v[22:23], v[12:13] offset0:240 offset1:241
	ds_write_b128 v14, v[0:3] offset:4480
	ds_read_b128 v[0:3], v52 offset:2560
	ds_read_b128 v[4:7], v14 offset:3840
	s_waitcnt lgkmcnt(0)
	v_add_f64 v[10:11], v[0:1], v[4:5]
	v_add_f64 v[0:1], v[0:1], -v[4:5]
	v_add_f64 v[12:13], v[2:3], v[6:7]
	v_add_f64 v[2:3], v[2:3], -v[6:7]
	v_mul_f64 v[0:1], v[0:1], 0.5
	v_mul_f64 v[4:5], v[12:13], 0.5
	;; [unrolled: 1-line block ×3, first 2 shown]
	s_waitcnt vmcnt(0)
	v_mul_f64 v[6:7], v[0:1], v[34:35]
	v_fma_f64 v[12:13], v[4:5], v[34:35], v[2:3]
	v_fma_f64 v[22:23], 0.5, v[10:11], v[6:7]
	v_fma_f64 v[2:3], v[4:5], v[34:35], -v[2:3]
	v_fma_f64 v[12:13], -v[32:33], v[0:1], v[12:13]
	v_fma_f64 v[6:7], v[10:11], 0.5, -v[6:7]
	v_fmac_f64_e32 v[22:23], v[4:5], v[32:33]
	v_fma_f64 v[2:3], -v[32:33], v[0:1], v[2:3]
	v_fma_f64 v[0:1], -v[4:5], v[32:33], v[6:7]
	ds_write2_b64 v15, v[22:23], v[12:13] offset0:64 offset1:65
	ds_write_b128 v14, v[0:3] offset:3840
	s_waitcnt lgkmcnt(0)
	s_barrier
	s_and_saveexec_b64 s[2:3], s[0:1]
	s_cbranch_execz .LBB0_21
; %bb.19:
	ds_read_b128 v[0:3], v52
	ds_read_b128 v[4:7], v52 offset:640
	v_lshl_add_u64 v[22:23], v[8:9], 4, v[20:21]
	s_movk_i32 s0, 0x1000
	v_or_b32_e32 v18, 0x140, v16
	s_waitcnt lgkmcnt(1)
	global_store_dwordx4 v[22:23], v[0:3], off
	ds_read_b128 v[0:3], v52 offset:1280
	s_waitcnt lgkmcnt(1)
	global_store_dwordx4 v[22:23], v[4:7], off offset:640
	ds_read_b128 v[4:7], v52 offset:1920
	ds_read_b128 v[8:11], v52 offset:2560
	;; [unrolled: 1-line block ×3, first 2 shown]
	s_waitcnt lgkmcnt(3)
	global_store_dwordx4 v[22:23], v[0:3], off offset:1280
	ds_read_b128 v[0:3], v52 offset:3840
	s_waitcnt lgkmcnt(3)
	global_store_dwordx4 v[22:23], v[4:7], off offset:1920
	s_waitcnt lgkmcnt(2)
	global_store_dwordx4 v[22:23], v[8:11], off offset:2560
	;; [unrolled: 2-line block ×3, first 2 shown]
	ds_read_b128 v[4:7], v52 offset:4480
	s_waitcnt lgkmcnt(1)
	global_store_dwordx4 v[22:23], v[0:3], off offset:3840
	ds_read_b128 v[0:3], v52 offset:5120
	ds_read_b128 v[8:11], v52 offset:5760
	v_add_co_u32_e32 v12, vcc, s0, v22
	s_nop 1
	v_addc_co_u32_e32 v13, vcc, 0, v23, vcc
	s_waitcnt lgkmcnt(2)
	global_store_dwordx4 v[12:13], v[4:7], off offset:384
	v_cmp_eq_u32_e32 vcc, 39, v16
	s_nop 0
	v_lshl_add_u64 v[4:5], v[18:19], 4, v[20:21]
	s_waitcnt lgkmcnt(1)
	global_store_dwordx4 v[4:5], v[0:3], off
	s_waitcnt lgkmcnt(0)
	global_store_dwordx4 v[12:13], v[8:11], off offset:1664
	s_and_b64 exec, exec, vcc
	s_cbranch_execz .LBB0_21
; %bb.20:
	ds_read_b128 v[0:3], v52 offset:5776
	v_add_co_u32_e32 v4, vcc, 0x1000, v20
	s_nop 1
	v_addc_co_u32_e32 v5, vcc, 0, v21, vcc
	s_waitcnt lgkmcnt(0)
	global_store_dwordx4 v[4:5], v[0:3], off offset:2304
.LBB0_21:
	s_endpgm
	.section	.rodata,"a",@progbits
	.p2align	6, 0x0
	.amdhsa_kernel fft_rtc_back_len400_factors_4_10_10_wgs_120_tpt_40_halfLds_dp_ip_CI_unitstride_sbrr_R2C_dirReg
		.amdhsa_group_segment_fixed_size 0
		.amdhsa_private_segment_fixed_size 0
		.amdhsa_kernarg_size 88
		.amdhsa_user_sgpr_count 2
		.amdhsa_user_sgpr_dispatch_ptr 0
		.amdhsa_user_sgpr_queue_ptr 0
		.amdhsa_user_sgpr_kernarg_segment_ptr 1
		.amdhsa_user_sgpr_dispatch_id 0
		.amdhsa_user_sgpr_kernarg_preload_length 0
		.amdhsa_user_sgpr_kernarg_preload_offset 0
		.amdhsa_user_sgpr_private_segment_size 0
		.amdhsa_uses_dynamic_stack 0
		.amdhsa_enable_private_segment 0
		.amdhsa_system_sgpr_workgroup_id_x 1
		.amdhsa_system_sgpr_workgroup_id_y 0
		.amdhsa_system_sgpr_workgroup_id_z 0
		.amdhsa_system_sgpr_workgroup_info 0
		.amdhsa_system_vgpr_workitem_id 0
		.amdhsa_next_free_vgpr 112
		.amdhsa_next_free_sgpr 22
		.amdhsa_accum_offset 112
		.amdhsa_reserve_vcc 1
		.amdhsa_float_round_mode_32 0
		.amdhsa_float_round_mode_16_64 0
		.amdhsa_float_denorm_mode_32 3
		.amdhsa_float_denorm_mode_16_64 3
		.amdhsa_dx10_clamp 1
		.amdhsa_ieee_mode 1
		.amdhsa_fp16_overflow 0
		.amdhsa_tg_split 0
		.amdhsa_exception_fp_ieee_invalid_op 0
		.amdhsa_exception_fp_denorm_src 0
		.amdhsa_exception_fp_ieee_div_zero 0
		.amdhsa_exception_fp_ieee_overflow 0
		.amdhsa_exception_fp_ieee_underflow 0
		.amdhsa_exception_fp_ieee_inexact 0
		.amdhsa_exception_int_div_zero 0
	.end_amdhsa_kernel
	.text
.Lfunc_end0:
	.size	fft_rtc_back_len400_factors_4_10_10_wgs_120_tpt_40_halfLds_dp_ip_CI_unitstride_sbrr_R2C_dirReg, .Lfunc_end0-fft_rtc_back_len400_factors_4_10_10_wgs_120_tpt_40_halfLds_dp_ip_CI_unitstride_sbrr_R2C_dirReg
                                        ; -- End function
	.section	.AMDGPU.csdata,"",@progbits
; Kernel info:
; codeLenInByte = 6772
; NumSgprs: 28
; NumVgprs: 112
; NumAgprs: 0
; TotalNumVgprs: 112
; ScratchSize: 0
; MemoryBound: 0
; FloatMode: 240
; IeeeMode: 1
; LDSByteSize: 0 bytes/workgroup (compile time only)
; SGPRBlocks: 3
; VGPRBlocks: 13
; NumSGPRsForWavesPerEU: 28
; NumVGPRsForWavesPerEU: 112
; AccumOffset: 112
; Occupancy: 4
; WaveLimiterHint : 1
; COMPUTE_PGM_RSRC2:SCRATCH_EN: 0
; COMPUTE_PGM_RSRC2:USER_SGPR: 2
; COMPUTE_PGM_RSRC2:TRAP_HANDLER: 0
; COMPUTE_PGM_RSRC2:TGID_X_EN: 1
; COMPUTE_PGM_RSRC2:TGID_Y_EN: 0
; COMPUTE_PGM_RSRC2:TGID_Z_EN: 0
; COMPUTE_PGM_RSRC2:TIDIG_COMP_CNT: 0
; COMPUTE_PGM_RSRC3_GFX90A:ACCUM_OFFSET: 27
; COMPUTE_PGM_RSRC3_GFX90A:TG_SPLIT: 0
	.text
	.p2alignl 6, 3212836864
	.fill 256, 4, 3212836864
	.type	__hip_cuid_a133d87dce100e5a,@object ; @__hip_cuid_a133d87dce100e5a
	.section	.bss,"aw",@nobits
	.globl	__hip_cuid_a133d87dce100e5a
__hip_cuid_a133d87dce100e5a:
	.byte	0                               ; 0x0
	.size	__hip_cuid_a133d87dce100e5a, 1

	.ident	"AMD clang version 19.0.0git (https://github.com/RadeonOpenCompute/llvm-project roc-6.4.0 25133 c7fe45cf4b819c5991fe208aaa96edf142730f1d)"
	.section	".note.GNU-stack","",@progbits
	.addrsig
	.addrsig_sym __hip_cuid_a133d87dce100e5a
	.amdgpu_metadata
---
amdhsa.kernels:
  - .agpr_count:     0
    .args:
      - .actual_access:  read_only
        .address_space:  global
        .offset:         0
        .size:           8
        .value_kind:     global_buffer
      - .offset:         8
        .size:           8
        .value_kind:     by_value
      - .actual_access:  read_only
        .address_space:  global
        .offset:         16
        .size:           8
        .value_kind:     global_buffer
      - .actual_access:  read_only
        .address_space:  global
        .offset:         24
        .size:           8
        .value_kind:     global_buffer
      - .offset:         32
        .size:           8
        .value_kind:     by_value
      - .actual_access:  read_only
        .address_space:  global
        .offset:         40
        .size:           8
        .value_kind:     global_buffer
      - .actual_access:  read_only
        .address_space:  global
        .offset:         48
        .size:           8
        .value_kind:     global_buffer
      - .offset:         56
        .size:           4
        .value_kind:     by_value
      - .actual_access:  read_only
        .address_space:  global
        .offset:         64
        .size:           8
        .value_kind:     global_buffer
      - .actual_access:  read_only
        .address_space:  global
        .offset:         72
        .size:           8
        .value_kind:     global_buffer
      - .address_space:  global
        .offset:         80
        .size:           8
        .value_kind:     global_buffer
    .group_segment_fixed_size: 0
    .kernarg_segment_align: 8
    .kernarg_segment_size: 88
    .language:       OpenCL C
    .language_version:
      - 2
      - 0
    .max_flat_workgroup_size: 120
    .name:           fft_rtc_back_len400_factors_4_10_10_wgs_120_tpt_40_halfLds_dp_ip_CI_unitstride_sbrr_R2C_dirReg
    .private_segment_fixed_size: 0
    .sgpr_count:     28
    .sgpr_spill_count: 0
    .symbol:         fft_rtc_back_len400_factors_4_10_10_wgs_120_tpt_40_halfLds_dp_ip_CI_unitstride_sbrr_R2C_dirReg.kd
    .uniform_work_group_size: 1
    .uses_dynamic_stack: false
    .vgpr_count:     112
    .vgpr_spill_count: 0
    .wavefront_size: 64
amdhsa.target:   amdgcn-amd-amdhsa--gfx950
amdhsa.version:
  - 1
  - 2
...

	.end_amdgpu_metadata
